;; amdgpu-corpus repo=ROCm/rocFFT kind=compiled arch=gfx1100 opt=O3
	.text
	.amdgcn_target "amdgcn-amd-amdhsa--gfx1100"
	.amdhsa_code_object_version 6
	.protected	fft_rtc_fwd_len100_factors_10_10_wgs_190_tpt_10_dim2_dp_ip_CI_sbcc_twdbase8_3step_dirReg_intrinsicReadWrite ; -- Begin function fft_rtc_fwd_len100_factors_10_10_wgs_190_tpt_10_dim2_dp_ip_CI_sbcc_twdbase8_3step_dirReg_intrinsicReadWrite
	.globl	fft_rtc_fwd_len100_factors_10_10_wgs_190_tpt_10_dim2_dp_ip_CI_sbcc_twdbase8_3step_dirReg_intrinsicReadWrite
	.p2align	8
	.type	fft_rtc_fwd_len100_factors_10_10_wgs_190_tpt_10_dim2_dp_ip_CI_sbcc_twdbase8_3step_dirReg_intrinsicReadWrite,@function
fft_rtc_fwd_len100_factors_10_10_wgs_190_tpt_10_dim2_dp_ip_CI_sbcc_twdbase8_3step_dirReg_intrinsicReadWrite: ; @fft_rtc_fwd_len100_factors_10_10_wgs_190_tpt_10_dim2_dp_ip_CI_sbcc_twdbase8_3step_dirReg_intrinsicReadWrite
; %bb.0:
	s_load_b128 s[4:7], s[0:1], 0x10
	s_mov_b32 s10, s15
	s_waitcnt lgkmcnt(0)
	s_load_b64 s[2:3], s[4:5], 0x8
	s_waitcnt lgkmcnt(0)
	s_add_u32 s4, s2, -1
	s_addc_u32 s5, s3, -1
	s_add_u32 s8, 0, 0x50d6f500
	s_addc_u32 s9, 0, 46
	s_mul_hi_u32 s12, s8, 0xffffffed
	s_add_i32 s9, s9, 0xd794330
	s_sub_i32 s12, s12, s8
	s_mul_i32 s14, s9, 0xffffffed
	s_mul_i32 s11, s8, 0xffffffed
	s_add_i32 s12, s12, s14
	s_mul_hi_u32 s13, s8, s11
	s_mul_i32 s16, s8, s12
	s_mul_hi_u32 s14, s8, s12
	s_mul_hi_u32 s15, s9, s11
	s_mul_i32 s11, s9, s11
	s_add_u32 s13, s13, s16
	s_addc_u32 s14, 0, s14
	s_mul_hi_u32 s17, s9, s12
	s_add_u32 s11, s13, s11
	s_mul_i32 s12, s9, s12
	s_addc_u32 s11, s14, s15
	s_addc_u32 s13, s17, 0
	s_add_u32 s11, s11, s12
	s_delay_alu instid0(SALU_CYCLE_1) | instskip(SKIP_3) | instid1(VALU_DEP_1)
	v_add_co_u32 v1, s8, s8, s11
	s_addc_u32 s11, 0, s13
	s_cmp_lg_u32 s8, 0
	s_addc_u32 s8, s9, s11
	v_readfirstlane_b32 s9, v1
	s_mul_i32 s12, s4, s8
	s_mul_hi_u32 s11, s4, s8
	s_mul_hi_u32 s13, s5, s8
	s_mul_i32 s8, s5, s8
	s_mul_hi_u32 s14, s4, s9
	s_mul_hi_u32 s15, s5, s9
	s_mul_i32 s9, s5, s9
	s_add_u32 s12, s14, s12
	s_addc_u32 s11, 0, s11
	s_add_u32 s9, s12, s9
	s_addc_u32 s9, s11, s15
	s_addc_u32 s11, s13, 0
	s_add_u32 s12, s9, s8
	s_addc_u32 s13, 0, s11
	s_mul_i32 s9, s12, 19
	s_add_u32 s8, s12, 1
	v_sub_co_u32 v1, s4, s4, s9
	s_mul_hi_u32 s9, s12, 19
	s_addc_u32 s11, s13, 0
	s_mul_i32 s14, s13, 19
	s_delay_alu instid0(VALU_DEP_1)
	v_sub_co_u32 v2, s15, v1, 19
	s_add_u32 s16, s12, 2
	s_addc_u32 s17, s13, 0
	s_add_i32 s9, s9, s14
	s_cmp_lg_u32 s4, 0
	v_readfirstlane_b32 s4, v2
	s_subb_u32 s9, s5, s9
	s_cmp_lg_u32 s15, 0
	s_subb_u32 s5, s9, 0
	s_delay_alu instid0(VALU_DEP_1) | instskip(SKIP_4) | instid1(SALU_CYCLE_1)
	s_cmp_gt_u32 s4, 18
	s_cselect_b32 s4, -1, 0
	s_cmp_eq_u32 s5, 0
	v_readfirstlane_b32 s5, v1
	s_cselect_b32 s4, s4, -1
	s_cmp_lg_u32 s4, 0
	s_cselect_b32 s14, s16, s8
	s_cselect_b32 s15, s17, s11
	s_cmp_gt_u32 s5, 18
	s_load_b64 s[4:5], s[0:1], 0x50
	s_cselect_b32 s11, -1, 0
	s_cmp_eq_u32 s9, 0
	s_load_b64 s[8:9], s[6:7], 0x0
	s_waitcnt lgkmcnt(0)
	s_cselect_b32 s9, s11, -1
	s_mov_b32 s11, 0
	s_cmp_lg_u32 s9, 0
	s_cselect_b32 s9, s14, s12
	s_cselect_b32 s13, s15, s13
	s_add_u32 s12, s9, 1
	s_addc_u32 s13, s13, 0
	s_mov_b64 s[14:15], 0
	v_cmp_lt_u64_e64 s9, s[10:11], s[12:13]
	s_delay_alu instid0(VALU_DEP_1)
	s_and_b32 vcc_lo, exec_lo, s9
	s_cbranch_vccnz .LBB0_2
; %bb.1:
	v_cvt_f32_u32_e32 v1, s12
	s_sub_i32 s11, 0, s12
	s_delay_alu instid0(VALU_DEP_1) | instskip(SKIP_2) | instid1(VALU_DEP_1)
	v_rcp_iflag_f32_e32 v1, v1
	s_waitcnt_depctr 0xfff
	v_mul_f32_e32 v1, 0x4f7ffffe, v1
	v_cvt_u32_f32_e32 v1, v1
	s_delay_alu instid0(VALU_DEP_1) | instskip(NEXT) | instid1(VALU_DEP_1)
	v_readfirstlane_b32 s9, v1
	s_mul_i32 s11, s11, s9
	s_delay_alu instid0(SALU_CYCLE_1) | instskip(NEXT) | instid1(SALU_CYCLE_1)
	s_mul_hi_u32 s11, s9, s11
	s_add_i32 s9, s9, s11
	s_delay_alu instid0(SALU_CYCLE_1) | instskip(NEXT) | instid1(SALU_CYCLE_1)
	s_mul_hi_u32 s9, s10, s9
	s_mul_i32 s11, s9, s12
	s_add_i32 s14, s9, 1
	s_sub_i32 s11, s10, s11
	s_delay_alu instid0(SALU_CYCLE_1)
	s_sub_i32 s15, s11, s12
	s_cmp_ge_u32 s11, s12
	s_cselect_b32 s9, s14, s9
	s_cselect_b32 s11, s15, s11
	s_add_i32 s14, s9, 1
	s_cmp_ge_u32 s11, s12
	s_cselect_b32 s14, s14, s9
.LBB0_2:
	v_mul_u32_u24_e32 v1, 0xd7a, v0
	s_load_b128 s[16:19], s[6:7], 0x8
	s_mul_i32 s6, s14, s13
	s_mul_hi_u32 s7, s14, s12
	s_mul_i32 s9, s14, s12
	v_lshrrev_b32_e32 v41, 16, v1
	s_add_i32 s7, s7, s6
	s_sub_u32 s6, s10, s9
	s_subb_u32 s7, 0, s7
	s_mul_i32 s10, s6, 19
	v_mul_lo_u16 v1, v41, 19
	s_mul_hi_u32 s9, s6, 19
	s_mul_i32 s7, s7, 19
	v_mov_b32_e32 v7, 0
	s_add_i32 s12, s9, s7
	v_sub_nc_u16 v1, v0, v1
	v_mov_b32_e32 v8, 0
	s_delay_alu instid0(VALU_DEP_2) | instskip(SKIP_3) | instid1(SALU_CYCLE_1)
	v_and_b32_e32 v42, 0xffff, v1
	s_waitcnt lgkmcnt(0)
	s_mul_i32 s6, s10, s16
	s_mul_i32 s11, s18, s14
	s_add_u32 s9, s11, s6
	v_mad_u64_u32 v[73:74], null, s16, v42, 0
	s_add_u32 s6, s10, 19
	s_addc_u32 s7, s12, 0
	s_delay_alu instid0(SALU_CYCLE_1) | instskip(NEXT) | instid1(VALU_DEP_2)
	v_cmp_le_u64_e64 s6, s[6:7], s[2:3]
	v_mov_b32_e32 v1, v74
	v_add_co_u32 v74, s10, s10, v42
	s_delay_alu instid0(VALU_DEP_1) | instskip(NEXT) | instid1(VALU_DEP_3)
	v_add_co_ci_u32_e64 v75, null, s12, 0, s10
	v_mad_u64_u32 v[2:3], null, s17, v42, v[1:2]
	v_dual_mov_b32 v3, v7 :: v_dual_mov_b32 v4, v8
	s_delay_alu instid0(VALU_DEP_3) | instskip(SKIP_2) | instid1(SALU_CYCLE_1)
	v_cmp_gt_u64_e32 vcc_lo, s[2:3], v[74:75]
	v_dual_mov_b32 v1, v7 :: v_dual_mov_b32 v2, v8
	s_or_b32 s2, s6, vcc_lo
	s_and_saveexec_b32 s3, s2
	s_cbranch_execz .LBB0_4
; %bb.3:
	v_mul_lo_u32 v1, s8, v41
	v_mov_b32_e32 v2, 0
	s_delay_alu instid0(VALU_DEP_2) | instskip(NEXT) | instid1(VALU_DEP_1)
	v_add3_u32 v1, s9, v73, v1
	v_lshlrev_b64 v[1:2], 4, v[1:2]
	s_delay_alu instid0(VALU_DEP_1) | instskip(NEXT) | instid1(VALU_DEP_2)
	v_add_co_u32 v1, vcc_lo, s4, v1
	v_add_co_ci_u32_e32 v2, vcc_lo, s5, v2, vcc_lo
	global_load_b128 v[1:4], v[1:2], off
.LBB0_4:
	s_or_b32 exec_lo, exec_lo, s3
	v_dual_mov_b32 v5, v7 :: v_dual_mov_b32 v6, v8
	s_and_saveexec_b32 s3, s2
	s_cbranch_execz .LBB0_6
; %bb.5:
	v_dual_mov_b32 v6, 0 :: v_dual_add_nc_u32 v5, 10, v41
	s_delay_alu instid0(VALU_DEP_1) | instskip(NEXT) | instid1(VALU_DEP_1)
	v_mul_lo_u32 v5, s8, v5
	v_add3_u32 v5, s9, v73, v5
	s_delay_alu instid0(VALU_DEP_1) | instskip(NEXT) | instid1(VALU_DEP_1)
	v_lshlrev_b64 v[5:6], 4, v[5:6]
	v_add_co_u32 v5, vcc_lo, s4, v5
	s_delay_alu instid0(VALU_DEP_2)
	v_add_co_ci_u32_e32 v6, vcc_lo, s5, v6, vcc_lo
	global_load_b128 v[5:8], v[5:6], off
.LBB0_6:
	s_or_b32 exec_lo, exec_lo, s3
	v_mov_b32_e32 v15, 0
	v_mov_b32_e32 v16, 0
	s_delay_alu instid0(VALU_DEP_2) | instskip(NEXT) | instid1(VALU_DEP_2)
	v_mov_b32_e32 v11, v15
	v_dual_mov_b32 v9, v15 :: v_dual_mov_b32 v10, v16
	v_mov_b32_e32 v12, v16
	s_and_saveexec_b32 s3, s2
	s_cbranch_execz .LBB0_8
; %bb.7:
	v_dual_mov_b32 v10, 0 :: v_dual_add_nc_u32 v9, 20, v41
	s_delay_alu instid0(VALU_DEP_1) | instskip(NEXT) | instid1(VALU_DEP_1)
	v_mul_lo_u32 v9, s8, v9
	v_add3_u32 v9, s9, v73, v9
	s_delay_alu instid0(VALU_DEP_1) | instskip(NEXT) | instid1(VALU_DEP_1)
	v_lshlrev_b64 v[9:10], 4, v[9:10]
	v_add_co_u32 v9, vcc_lo, s4, v9
	s_delay_alu instid0(VALU_DEP_2)
	v_add_co_ci_u32_e32 v10, vcc_lo, s5, v10, vcc_lo
	global_load_b128 v[9:12], v[9:10], off
.LBB0_8:
	s_or_b32 exec_lo, exec_lo, s3
	v_dual_mov_b32 v13, v15 :: v_dual_mov_b32 v14, v16
	s_and_saveexec_b32 s3, s2
	s_cbranch_execz .LBB0_10
; %bb.9:
	v_dual_mov_b32 v14, 0 :: v_dual_add_nc_u32 v13, 30, v41
	s_delay_alu instid0(VALU_DEP_1) | instskip(NEXT) | instid1(VALU_DEP_1)
	v_mul_lo_u32 v13, s8, v13
	v_add3_u32 v13, s9, v73, v13
	s_delay_alu instid0(VALU_DEP_1) | instskip(NEXT) | instid1(VALU_DEP_1)
	v_lshlrev_b64 v[13:14], 4, v[13:14]
	v_add_co_u32 v13, vcc_lo, s4, v13
	s_delay_alu instid0(VALU_DEP_2)
	v_add_co_ci_u32_e32 v14, vcc_lo, s5, v14, vcc_lo
	global_load_b128 v[13:16], v[13:14], off
.LBB0_10:
	s_or_b32 exec_lo, exec_lo, s3
	v_mov_b32_e32 v19, 0
	v_mov_b32_e32 v20, 0
	s_delay_alu instid0(VALU_DEP_1)
	v_dual_mov_b32 v24, v20 :: v_dual_mov_b32 v23, v19
	v_dual_mov_b32 v22, v20 :: v_dual_mov_b32 v21, v19
	s_and_saveexec_b32 s3, s2
	s_cbranch_execz .LBB0_12
; %bb.11:
	v_dual_mov_b32 v18, 0 :: v_dual_add_nc_u32 v17, 40, v41
	s_delay_alu instid0(VALU_DEP_1) | instskip(NEXT) | instid1(VALU_DEP_1)
	v_mul_lo_u32 v17, s8, v17
	v_add3_u32 v17, s9, v73, v17
	s_delay_alu instid0(VALU_DEP_1) | instskip(NEXT) | instid1(VALU_DEP_1)
	v_lshlrev_b64 v[17:18], 4, v[17:18]
	v_add_co_u32 v17, vcc_lo, s4, v17
	s_delay_alu instid0(VALU_DEP_2)
	v_add_co_ci_u32_e32 v18, vcc_lo, s5, v18, vcc_lo
	global_load_b128 v[21:24], v[17:18], off
.LBB0_12:
	s_or_b32 exec_lo, exec_lo, s3
	v_dual_mov_b32 v17, v19 :: v_dual_mov_b32 v18, v20
	s_and_saveexec_b32 s3, s2
	s_cbranch_execz .LBB0_14
; %bb.13:
	v_dual_mov_b32 v18, 0 :: v_dual_add_nc_u32 v17, 50, v41
	s_delay_alu instid0(VALU_DEP_1) | instskip(NEXT) | instid1(VALU_DEP_1)
	v_mul_lo_u32 v17, s8, v17
	v_add3_u32 v17, s9, v73, v17
	s_delay_alu instid0(VALU_DEP_1) | instskip(NEXT) | instid1(VALU_DEP_1)
	v_lshlrev_b64 v[17:18], 4, v[17:18]
	v_add_co_u32 v17, vcc_lo, s4, v17
	s_delay_alu instid0(VALU_DEP_2)
	v_add_co_ci_u32_e32 v18, vcc_lo, s5, v18, vcc_lo
	global_load_b128 v[17:20], v[17:18], off
.LBB0_14:
	s_or_b32 exec_lo, exec_lo, s3
	v_mov_b32_e32 v27, 0
	v_mov_b32_e32 v28, 0
	s_delay_alu instid0(VALU_DEP_1)
	v_dual_mov_b32 v32, v28 :: v_dual_mov_b32 v31, v27
	v_dual_mov_b32 v30, v28 :: v_dual_mov_b32 v29, v27
	;; [unrolled: 36-line block ×3, first 2 shown]
	s_and_saveexec_b32 s3, s2
	s_cbranch_execz .LBB0_20
; %bb.19:
	v_or_b32_e32 v33, 0x50, v41
	v_mov_b32_e32 v34, 0
	s_delay_alu instid0(VALU_DEP_2) | instskip(NEXT) | instid1(VALU_DEP_1)
	v_mul_lo_u32 v33, s8, v33
	v_add3_u32 v33, s9, v73, v33
	s_delay_alu instid0(VALU_DEP_1) | instskip(NEXT) | instid1(VALU_DEP_1)
	v_lshlrev_b64 v[33:34], 4, v[33:34]
	v_add_co_u32 v33, vcc_lo, s4, v33
	s_delay_alu instid0(VALU_DEP_2)
	v_add_co_ci_u32_e32 v34, vcc_lo, s5, v34, vcc_lo
	global_load_b128 v[37:40], v[33:34], off
.LBB0_20:
	s_or_b32 exec_lo, exec_lo, s3
	v_dual_mov_b32 v33, v35 :: v_dual_mov_b32 v34, v36
	s_and_saveexec_b32 s3, s2
	s_cbranch_execz .LBB0_22
; %bb.21:
	v_dual_mov_b32 v34, 0 :: v_dual_add_nc_u32 v33, 0x5a, v41
	s_delay_alu instid0(VALU_DEP_1) | instskip(NEXT) | instid1(VALU_DEP_1)
	v_mul_lo_u32 v33, s8, v33
	v_add3_u32 v33, s9, v73, v33
	s_delay_alu instid0(VALU_DEP_1) | instskip(NEXT) | instid1(VALU_DEP_1)
	v_lshlrev_b64 v[33:34], 4, v[33:34]
	v_add_co_u32 v33, vcc_lo, s4, v33
	s_delay_alu instid0(VALU_DEP_2)
	v_add_co_ci_u32_e32 v34, vcc_lo, s5, v34, vcc_lo
	global_load_b128 v[33:36], v[33:34], off
.LBB0_22:
	s_or_b32 exec_lo, exec_lo, s3
	s_waitcnt vmcnt(0)
	v_add_f64 v[43:44], v[19:20], v[27:28]
	v_add_f64 v[47:48], v[17:18], v[25:26]
	;; [unrolled: 1-line block ×4, first 2 shown]
	v_add_f64 v[53:54], v[13:14], -v[33:34]
	v_add_f64 v[55:56], v[15:16], -v[35:36]
	;; [unrolled: 1-line block ×4, first 2 shown]
	s_mov_b32 s10, 0x134454ff
	s_mov_b32 s11, 0x3fee6f0e
	;; [unrolled: 1-line block ×4, first 2 shown]
	v_add_f64 v[59:60], v[21:22], v[29:30]
	v_add_f64 v[61:62], v[9:10], v[37:38]
	;; [unrolled: 1-line block ×3, first 2 shown]
	v_add_f64 v[67:68], v[13:14], -v[17:18]
	v_add_f64 v[69:70], v[33:34], -v[25:26]
	;; [unrolled: 1-line block ×4, first 2 shown]
	v_add_f64 v[65:66], v[11:12], v[39:40]
	v_add_f64 v[71:72], v[17:18], -v[13:14]
	v_add_f64 v[75:76], v[25:26], -v[33:34]
	;; [unrolled: 1-line block ×4, first 2 shown]
	s_mov_b32 s14, 0x4755a5e
	s_mov_b32 s15, 0x3fe2cf23
	;; [unrolled: 1-line block ×4, first 2 shown]
	v_add_f64 v[93:94], v[3:4], v[11:12]
	v_add_f64 v[95:96], v[23:24], -v[31:32]
	v_add_f64 v[97:98], v[9:10], -v[37:38]
	;; [unrolled: 1-line block ×3, first 2 shown]
	s_mov_b32 s16, 0x372fe950
	s_mov_b32 s17, 0x3fd3c6ef
	;; [unrolled: 1-line block ×4, first 2 shown]
	v_fma_f64 v[43:44], v[43:44], -0.5, v[7:8]
	v_fma_f64 v[47:48], v[47:48], -0.5, v[5:6]
	;; [unrolled: 1-line block ×4, first 2 shown]
	v_add_f64 v[5:6], v[5:6], v[13:14]
	v_add_f64 v[7:8], v[7:8], v[15:16]
	;; [unrolled: 1-line block ×3, first 2 shown]
	v_add_f64 v[15:16], v[11:12], -v[39:40]
	v_fma_f64 v[59:60], v[59:60], -0.5, v[1:2]
	v_fma_f64 v[1:2], v[61:62], -0.5, v[1:2]
	v_fma_f64 v[61:62], v[63:64], -0.5, v[3:4]
	v_add_f64 v[63:64], v[67:68], v[69:70]
	v_add_f64 v[67:68], v[77:78], v[79:80]
	v_fma_f64 v[3:4], v[65:66], -0.5, v[3:4]
	v_add_f64 v[77:78], v[37:38], -v[29:30]
	v_add_f64 v[65:66], v[71:72], v[75:76]
	v_add_f64 v[79:80], v[29:30], -v[37:38]
	v_fma_f64 v[83:84], v[53:54], s[6:7], v[43:44]
	v_fma_f64 v[87:88], v[55:56], s[6:7], v[47:48]
	;; [unrolled: 1-line block ×8, first 2 shown]
	v_add_f64 v[13:14], v[13:14], v[21:22]
	v_add_f64 v[5:6], v[5:6], v[17:18]
	v_add_f64 v[7:8], v[7:8], v[19:20]
	v_fma_f64 v[17:18], v[15:16], s[10:11], v[59:60]
	v_fma_f64 v[19:20], v[15:16], s[6:7], v[59:60]
	;; [unrolled: 1-line block ×5, first 2 shown]
	v_add_f64 v[83:84], v[39:40], -v[31:32]
	v_fma_f64 v[47:48], v[51:52], s[14:15], v[47:48]
	v_fma_f64 v[71:72], v[55:56], s[14:15], v[85:86]
	;; [unrolled: 1-line block ×4, first 2 shown]
	v_add_f64 v[51:52], v[81:82], v[89:90]
	v_fma_f64 v[75:76], v[53:54], s[14:15], v[91:92]
	v_fma_f64 v[43:44], v[57:58], s[14:15], v[43:44]
	v_add_f64 v[57:58], v[9:10], -v[21:22]
	v_add_f64 v[9:10], v[21:22], -v[9:10]
	v_add_f64 v[21:22], v[93:94], v[23:24]
	v_add_f64 v[81:82], v[11:12], -v[23:24]
	v_add_f64 v[11:12], v[23:24], -v[11:12]
	v_fma_f64 v[23:24], v[95:96], s[6:7], v[1:2]
	v_fma_f64 v[1:2], v[95:96], s[10:11], v[1:2]
	;; [unrolled: 1-line block ×3, first 2 shown]
	v_add_f64 v[85:86], v[31:32], -v[39:40]
	v_fma_f64 v[87:88], v[99:100], s[10:11], v[3:4]
	v_fma_f64 v[3:4], v[99:100], s[6:7], v[3:4]
	v_add_f64 v[13:14], v[13:14], v[29:30]
	v_add_f64 v[5:6], v[5:6], v[25:26]
	;; [unrolled: 1-line block ×3, first 2 shown]
	v_fma_f64 v[17:18], v[95:96], s[14:15], v[17:18]
	v_fma_f64 v[19:20], v[95:96], s[12:13], v[19:20]
	;; [unrolled: 1-line block ×10, first 2 shown]
	v_add_f64 v[57:58], v[57:58], v[77:78]
	v_add_f64 v[9:10], v[9:10], v[79:80]
	v_add_f64 v[21:22], v[21:22], v[31:32]
	v_add_f64 v[65:66], v[81:82], v[83:84]
	v_fma_f64 v[23:24], v[15:16], s[14:15], v[23:24]
	v_fma_f64 v[1:2], v[15:16], s[12:13], v[1:2]
	;; [unrolled: 1-line block ×3, first 2 shown]
	v_add_f64 v[11:12], v[11:12], v[85:86]
	v_fma_f64 v[27:28], v[97:98], s[12:13], v[87:88]
	v_fma_f64 v[29:30], v[51:52], s[16:17], v[49:50]
	;; [unrolled: 1-line block ×3, first 2 shown]
	v_add_f64 v[13:14], v[13:14], v[37:38]
	v_add_f64 v[5:6], v[5:6], v[33:34]
	;; [unrolled: 1-line block ×3, first 2 shown]
	v_mul_f64 v[31:32], v[53:54], s[14:15]
	v_mul_f64 v[61:62], v[47:48], s[12:13]
	;; [unrolled: 1-line block ×8, first 2 shown]
	v_fma_f64 v[33:34], v[57:58], s[16:17], v[17:18]
	v_fma_f64 v[35:36], v[57:58], s[16:17], v[19:20]
	v_add_f64 v[21:22], v[21:22], v[39:40]
	v_fma_f64 v[37:38], v[9:10], s[16:17], v[23:24]
	v_fma_f64 v[39:40], v[9:10], s[16:17], v[1:2]
	;; [unrolled: 1-line block ×6, first 2 shown]
	v_add_f64 v[1:2], v[13:14], v[5:6]
	v_add_f64 v[5:6], v[13:14], -v[5:6]
	v_fma_f64 v[25:26], v[47:48], s[18:19], v[31:32]
	v_fma_f64 v[47:48], v[53:54], s[18:19], v[61:62]
	;; [unrolled: 1-line block ×4, first 2 shown]
	v_fma_f64 v[31:32], v[63:64], s[10:11], -v[51:52]
	v_fma_f64 v[43:44], v[43:44], s[14:15], -v[59:60]
	;; [unrolled: 1-line block ×4, first 2 shown]
	v_add_f64 v[3:4], v[21:22], v[7:8]
	v_add_f64 v[7:8], v[21:22], -v[7:8]
	v_add_f64 v[9:10], v[33:34], v[25:26]
	v_add_f64 v[25:26], v[33:34], -v[25:26]
	v_add_f64 v[11:12], v[57:58], v[47:48]
	v_add_f64 v[13:14], v[37:38], v[27:28]
	;; [unrolled: 1-line block ×7, first 2 shown]
	v_add_f64 v[29:30], v[37:38], -v[27:28]
	v_add_f64 v[27:28], v[57:58], -v[47:48]
	;; [unrolled: 1-line block ×7, first 2 shown]
	v_mad_u32_u24 v37, 0xbe0, v41, 0
	s_delay_alu instid0(VALU_DEP_1)
	v_lshl_add_u32 v38, v42, 4, v37
	ds_store_b128 v38, v[1:4]
	ds_store_b128 v38, v[9:12] offset:304
	ds_store_b128 v38, v[13:16] offset:608
	;; [unrolled: 1-line block ×9, first 2 shown]
	s_waitcnt lgkmcnt(0)
	s_barrier
	buffer_gl0_inv
	s_and_saveexec_b32 s3, s2
	s_cbranch_execz .LBB0_24
; %bb.23:
	v_mul_lo_u16 v1, v41, 26
	s_load_b128 s[0:3], s[0:1], 0x0
	v_mul_i32_i24_e32 v38, 0xfffff550, v41
	v_lshlrev_b32_e32 v39, 4, v42
	v_and_b32_e32 v0, 0xffff, v0
	v_lshrrev_b16 v1, 8, v1
	s_delay_alu instid0(VALU_DEP_3) | instskip(NEXT) | instid1(VALU_DEP_3)
	v_add3_u32 v97, v37, v38, v39
	v_mul_u32_u24_e32 v0, 0x159, v0
	s_delay_alu instid0(VALU_DEP_3) | instskip(NEXT) | instid1(VALU_DEP_2)
	v_mul_lo_u16 v1, v1, 10
	v_lshrrev_b32_e32 v0, 16, v0
	s_delay_alu instid0(VALU_DEP_2) | instskip(NEXT) | instid1(VALU_DEP_1)
	v_sub_nc_u16 v1, v41, v1
	v_and_b32_e32 v95, 0xff, v1
	s_delay_alu instid0(VALU_DEP_1) | instskip(SKIP_3) | instid1(VALU_DEP_4)
	v_mul_u32_u24_e32 v1, 9, v95
	v_add_nc_u32_e32 v37, 0x5a, v95
	v_mul_lo_u32 v96, v74, v95
	v_or_b32_e32 v53, 0x50, v95
	v_lshlrev_b32_e32 v33, 4, v1
	s_delay_alu instid0(VALU_DEP_4)
	v_mul_lo_u32 v98, v74, v37
	s_waitcnt lgkmcnt(0)
	s_clause 0x8
	global_load_b128 v[5:8], v33, s[0:1] offset:48
	global_load_b128 v[21:24], v33, s[0:1] offset:80
	global_load_b128 v[17:20], v33, s[0:1] offset:16
	global_load_b128 v[13:16], v33, s[0:1] offset:112
	global_load_b128 v[9:12], v33, s[0:1] offset:32
	global_load_b128 v[29:32], v33, s[0:1] offset:128
	global_load_b128 v[25:28], v33, s[0:1] offset:64
	global_load_b128 v[1:4], v33, s[0:1] offset:96
	global_load_b128 v[33:36], v33, s[0:1]
	ds_load_b128 v[65:68], v97 offset:12160
	ds_load_b128 v[69:72], v97 offset:18240
	v_and_b32_e32 v37, 0xff, v96
	v_and_b32_e32 v45, 0xff, v98
	v_lshrrev_b32_e32 v38, 4, v96
	v_lshrrev_b32_e32 v46, 4, v98
	s_movk_i32 s0, 0x1000
	v_lshlrev_b32_e32 v37, 4, v37
	v_lshlrev_b32_e32 v45, 4, v45
	v_and_or_b32 v41, 0xff0, v38, s0
	v_and_or_b32 v49, 0xff0, v46, s0
	s_clause 0x1
	global_load_b128 v[37:40], v37, s[2:3]
	global_load_b128 v[41:44], v41, s[2:3]
	ds_load_b128 v[103:106], v97 offset:15200
	ds_load_b128 v[61:64], v97 offset:21280
	s_clause 0x1
	global_load_b128 v[45:48], v45, s[2:3]
	global_load_b128 v[49:52], v49, s[2:3]
	ds_load_b128 v[77:80], v97 offset:6080
	ds_load_b128 v[107:110], v97 offset:9120
	;; [unrolled: 1-line block ×3, first 2 shown]
	v_mul_lo_u32 v100, v74, v53
	s_movk_i32 s1, 0xff0
	s_delay_alu instid0(VALU_DEP_1)
	v_lshrrev_b32_e32 v53, 4, v100
	s_waitcnt vmcnt(12) lgkmcnt(6)
	v_mul_f64 v[75:76], v[65:66], v[7:8]
	v_mul_f64 v[7:8], v[67:68], v[7:8]
	s_waitcnt vmcnt(11) lgkmcnt(5)
	v_mul_f64 v[85:86], v[71:72], v[23:24]
	v_mul_f64 v[81:82], v[69:70], v[23:24]
	;; [unrolled: 3-line block ×3, first 2 shown]
	v_add_nc_u32_e32 v23, 0x46, v95
	v_and_b32_e32 v24, 0xff, v100
	s_waitcnt vmcnt(9) lgkmcnt(0)
	v_mul_f64 v[115:116], v[89:90], v[15:16]
	s_delay_alu instid0(VALU_DEP_3) | instskip(NEXT) | instid1(VALU_DEP_3)
	v_mul_lo_u32 v99, v74, v23
	v_lshlrev_b32_e32 v23, 4, v24
	v_and_or_b32 v24, 0xff0, v53, s0
	s_clause 0x1
	global_load_b128 v[53:56], v23, s[2:3]
	global_load_b128 v[57:60], v24, s[2:3]
	ds_load_b128 v[111:114], v97 offset:27360
	v_and_b32_e32 v19, 0xff, v99
	v_lshrrev_b32_e32 v20, 4, v99
	s_delay_alu instid0(VALU_DEP_2) | instskip(NEXT) | instid1(VALU_DEP_2)
	v_lshlrev_b32_e32 v19, 4, v19
	v_and_or_b32 v20, 0xff0, v20, s0
	v_fma_f64 v[75:76], v[67:68], v[5:6], v[75:76]
	v_fma_f64 v[83:84], v[65:66], v[5:6], -v[7:8]
	v_add_nc_u32_e32 v65, 60, v95
	v_fma_f64 v[85:86], v[69:70], v[21:22], -v[85:86]
	v_mul_f64 v[69:70], v[91:92], v[15:16]
	global_load_b128 v[5:8], v19, s[2:3]
	v_fma_f64 v[23:24], v[71:72], v[21:22], v[81:82]
	v_mul_lo_u32 v101, v74, v65
	global_load_b128 v[19:22], v20, s[2:3]
	v_fma_f64 v[81:82], v[79:80], v[17:18], v[87:88]
	v_fma_f64 v[87:88], v[77:78], v[17:18], -v[93:94]
	s_waitcnt vmcnt(12)
	v_mul_f64 v[71:72], v[109:110], v[11:12]
	v_mul_f64 v[93:94], v[107:108], v[11:12]
	v_add_nc_u32_e32 v11, 50, v95
	v_fma_f64 v[79:80], v[91:92], v[13:14], v[115:116]
	v_and_b32_e32 v15, 0xff, v101
	v_lshrrev_b32_e32 v16, 4, v101
	s_delay_alu instid0(VALU_DEP_4) | instskip(NEXT) | instid1(VALU_DEP_3)
	v_mul_lo_u32 v102, v74, v11
	v_lshlrev_b32_e32 v15, 4, v15
	s_delay_alu instid0(VALU_DEP_3)
	v_and_or_b32 v65, 0xff0, v16, s0
	s_clause 0x1
	global_load_b128 v[15:18], v15, s[2:3]
	global_load_b128 v[65:68], v65, s[2:3]
	v_and_b32_e32 v11, 0xff, v102
	v_lshrrev_b32_e32 v12, 4, v102
	s_delay_alu instid0(VALU_DEP_2) | instskip(SKIP_1) | instid1(VALU_DEP_3)
	v_lshlrev_b32_e32 v11, 4, v11
	v_fma_f64 v[77:78], v[89:90], v[13:14], -v[69:70]
	v_and_or_b32 v69, 0xff0, v12, s0
	global_load_b128 v[11:14], v11, s[2:3]
	v_fma_f64 v[91:92], v[107:108], v[9:10], -v[71:72]
	global_load_b128 v[69:72], v69, s[2:3]
	v_fma_f64 v[89:90], v[109:110], v[9:10], v[93:94]
	s_waitcnt vmcnt(15) lgkmcnt(0)
	v_mul_f64 v[9:10], v[113:114], v[31:32]
	v_mul_f64 v[93:94], v[111:112], v[31:32]
	s_waitcnt vmcnt(14)
	v_mul_f64 v[107:108], v[105:106], v[27:28]
	v_mul_f64 v[109:110], v[103:104], v[27:28]
	s_delay_alu instid0(VALU_DEP_4)
	v_fma_f64 v[31:32], v[111:112], v[29:30], -v[9:10]
	s_waitcnt vmcnt(13)
	v_mul_f64 v[111:112], v[63:64], v[3:4]
	v_fma_f64 v[9:10], v[113:114], v[29:30], v[93:94]
	ds_load_b128 v[27:30], v97 offset:3040
	v_mul_f64 v[3:4], v[61:62], v[3:4]
	v_fma_f64 v[93:94], v[103:104], v[25:26], -v[107:108]
	v_fma_f64 v[25:26], v[105:106], v[25:26], v[109:110]
	ds_load_b128 v[103:106], v97
	v_lshrrev_b32_e32 v109, 12, v98
	s_waitcnt vmcnt(10)
	v_mul_f64 v[97:98], v[39:40], v[43:44]
	v_mul_f64 v[43:44], v[37:38], v[43:44]
	s_waitcnt lgkmcnt(1)
	v_mul_f64 v[107:108], v[29:30], v[35:36]
	v_mul_f64 v[35:36], v[27:28], v[35:36]
	v_fma_f64 v[61:62], v[61:62], v[1:2], -v[111:112]
	s_waitcnt vmcnt(8)
	v_mul_f64 v[111:112], v[47:48], v[51:52]
	v_mul_f64 v[51:52], v[45:46], v[51:52]
	v_fma_f64 v[63:64], v[63:64], v[1:2], v[3:4]
	v_lshrrev_b32_e32 v1, 12, v100
	v_and_or_b32 v2, v109, s1, 0x2000
	v_fma_f64 v[97:98], v[37:38], v[41:42], -v[97:98]
	s_delay_alu instid0(VALU_DEP_3)
	v_and_or_b32 v100, v1, s1, 0x2000
	v_fma_f64 v[113:114], v[41:42], v[39:40], v[43:44]
	global_load_b128 v[1:4], v2, s[2:3]
	v_fma_f64 v[107:108], v[27:28], v[33:34], -v[107:108]
	v_fma_f64 v[109:110], v[29:30], v[33:34], v[35:36]
	global_load_b128 v[27:30], v100, s[2:3]
	v_lshrrev_b32_e32 v33, 12, v99
	v_lshrrev_b32_e32 v34, 12, v101
	s_delay_alu instid0(VALU_DEP_2) | instskip(NEXT) | instid1(VALU_DEP_2)
	v_and_or_b32 v33, v33, s1, 0x2000
	v_and_or_b32 v37, v34, s1, 0x2000
	s_clause 0x1
	global_load_b128 v[33:36], v33, s[2:3]
	global_load_b128 v[37:40], v37, s[2:3]
	s_waitcnt vmcnt(10)
	v_mul_f64 v[99:100], v[55:56], v[59:60]
	v_mul_f64 v[41:42], v[53:54], v[59:60]
	v_fma_f64 v[59:60], v[45:46], v[49:50], -v[111:112]
	v_fma_f64 v[111:112], v[47:48], v[49:50], v[51:52]
	v_add_nc_u32_e32 v45, 40, v95
	s_delay_alu instid0(VALU_DEP_1)
	v_mul_lo_u32 v45, v74, v45
	s_waitcnt vmcnt(8)
	v_mul_f64 v[43:44], v[7:8], v[21:22]
	v_mul_f64 v[21:22], v[5:6], v[21:22]
	v_fma_f64 v[99:100], v[53:54], v[57:58], -v[99:100]
	v_fma_f64 v[57:58], v[55:56], v[57:58], v[41:42]
	v_and_b32_e32 v41, 0xff, v45
	v_lshrrev_b32_e32 v42, 4, v45
	s_delay_alu instid0(VALU_DEP_2)
	v_lshlrev_b32_e32 v41, 4, v41
	s_waitcnt vmcnt(6)
	v_mul_f64 v[49:50], v[17:18], v[67:68]
	v_mul_f64 v[51:52], v[15:16], v[67:68]
	v_and_or_b32 v42, 0xff0, v42, s0
	v_fma_f64 v[67:68], v[5:6], v[19:20], -v[43:44]
	v_fma_f64 v[115:116], v[7:8], v[19:20], v[21:22]
	s_clause 0x1
	global_load_b128 v[5:8], v41, s[2:3]
	global_load_b128 v[19:22], v42, s[2:3]
	v_lshrrev_b32_e32 v41, 12, v102
	v_lshrrev_b32_e32 v42, 12, v45
	s_delay_alu instid0(VALU_DEP_2) | instskip(NEXT) | instid1(VALU_DEP_2)
	v_and_or_b32 v41, v41, s1, 0x2000
	v_and_or_b32 v45, v42, s1, 0x2000
	s_clause 0x1
	global_load_b128 v[41:44], v41, s[2:3]
	global_load_b128 v[45:48], v45, s[2:3]
	v_fma_f64 v[101:102], v[15:16], v[65:66], -v[49:50]
	v_fma_f64 v[65:66], v[17:18], v[65:66], v[51:52]
	s_waitcnt vmcnt(8)
	v_mul_f64 v[15:16], v[13:14], v[71:72]
	v_mul_f64 v[17:18], v[11:12], v[71:72]
	v_add_nc_u32_e32 v49, 30, v95
	s_delay_alu instid0(VALU_DEP_1) | instskip(NEXT) | instid1(VALU_DEP_1)
	v_mul_lo_u32 v51, v74, v49
	v_lshrrev_b32_e32 v49, 4, v51
	v_and_b32_e32 v50, 0xff, v51
	s_delay_alu instid0(VALU_DEP_2) | instskip(NEXT) | instid1(VALU_DEP_2)
	v_and_or_b32 v49, 0xff0, v49, s0
	v_lshlrev_b32_e32 v50, 4, v50
	v_fma_f64 v[71:72], v[11:12], v[69:70], -v[15:16]
	v_fma_f64 v[69:70], v[13:14], v[69:70], v[17:18]
	s_clause 0x1
	global_load_b128 v[11:14], v49, s[2:3]
	global_load_b128 v[15:18], v50, s[2:3]
	s_waitcnt vmcnt(4)
	v_mul_f64 v[49:50], v[7:8], v[21:22]
	v_mul_f64 v[21:22], v[5:6], v[21:22]
	s_delay_alu instid0(VALU_DEP_2) | instskip(SKIP_1) | instid1(VALU_DEP_3)
	v_fma_f64 v[117:118], v[5:6], v[19:20], -v[49:50]
	v_add_nc_u32_e32 v5, 20, v95
	v_fma_f64 v[119:120], v[7:8], v[19:20], v[21:22]
	s_delay_alu instid0(VALU_DEP_2) | instskip(SKIP_1) | instid1(VALU_DEP_1)
	v_mul_lo_u32 v52, v74, v5
	v_lshrrev_b32_e32 v5, 12, v51
	v_and_or_b32 v5, v5, s1, 0x2000
	s_delay_alu instid0(VALU_DEP_3) | instskip(SKIP_3) | instid1(VALU_DEP_3)
	v_lshrrev_b32_e32 v6, 12, v52
	s_waitcnt vmcnt(0)
	v_mul_f64 v[49:50], v[17:18], v[13:14]
	v_mul_f64 v[13:14], v[15:16], v[13:14]
	v_and_or_b32 v19, v6, s1, 0x2000
	s_clause 0x1
	global_load_b128 v[5:8], v5, s[2:3]
	global_load_b128 v[19:22], v19, s[2:3]
	v_fma_f64 v[121:122], v[15:16], v[11:12], -v[49:50]
	v_fma_f64 v[123:124], v[17:18], v[11:12], v[13:14]
	v_and_b32_e32 v11, 0xff, v52
	v_lshrrev_b32_e32 v12, 4, v52
	s_delay_alu instid0(VALU_DEP_2) | instskip(NEXT) | instid1(VALU_DEP_2)
	v_lshlrev_b32_e32 v11, 4, v11
	v_and_or_b32 v15, 0xff0, v12, s0
	s_clause 0x1
	global_load_b128 v[11:14], v11, s[2:3]
	global_load_b128 v[15:18], v15, s[2:3]
	s_waitcnt vmcnt(0)
	v_mul_f64 v[49:50], v[13:14], v[17:18]
	s_delay_alu instid0(VALU_DEP_1) | instskip(SKIP_1) | instid1(VALU_DEP_1)
	v_fma_f64 v[125:126], v[11:12], v[15:16], -v[49:50]
	v_mul_f64 v[11:12], v[11:12], v[17:18]
	v_fma_f64 v[127:128], v[13:14], v[15:16], v[11:12]
	v_add_nc_u32_e32 v11, 10, v95
	v_lshrrev_b32_e32 v14, 12, v96
	s_delay_alu instid0(VALU_DEP_2) | instskip(NEXT) | instid1(VALU_DEP_2)
	v_mul_lo_u32 v11, v74, v11
	v_and_or_b32 v49, v14, s1, 0x2000
	s_delay_alu instid0(VALU_DEP_2) | instskip(SKIP_2) | instid1(VALU_DEP_3)
	v_and_b32_e32 v12, 0xff, v11
	v_lshrrev_b32_e32 v13, 4, v11
	v_lshrrev_b32_e32 v11, 12, v11
	v_lshlrev_b32_e32 v12, 4, v12
	s_delay_alu instid0(VALU_DEP_3) | instskip(NEXT) | instid1(VALU_DEP_3)
	v_and_or_b32 v15, 0xff0, v13, s0
	v_and_or_b32 v53, v11, s1, 0x2000
	s_clause 0x3
	global_load_b128 v[11:14], v12, s[2:3]
	global_load_b128 v[15:18], v15, s[2:3]
	;; [unrolled: 1-line block ×4, first 2 shown]
	s_waitcnt vmcnt(2)
	v_mul_f64 v[129:130], v[13:14], v[17:18]
	s_delay_alu instid0(VALU_DEP_1) | instskip(SKIP_3) | instid1(VALU_DEP_3)
	v_fma_f64 v[129:130], v[11:12], v[15:16], -v[129:130]
	v_mul_f64 v[11:12], v[11:12], v[17:18]
	v_mul_f64 v[17:18], v[111:112], v[3:4]
	;; [unrolled: 1-line block ×3, first 2 shown]
	v_fma_f64 v[11:12], v[13:14], v[15:16], v[11:12]
	s_waitcnt vmcnt(1)
	v_mul_f64 v[13:14], v[51:52], v[113:114]
	v_mul_f64 v[15:16], v[51:52], v[97:98]
	s_delay_alu instid0(VALU_DEP_2) | instskip(NEXT) | instid1(VALU_DEP_2)
	v_fma_f64 v[13:14], v[49:50], v[97:98], -v[13:14]
	v_fma_f64 v[15:16], v[49:50], v[113:114], v[15:16]
	v_fma_f64 v[49:50], v[1:2], v[59:60], -v[17:18]
	v_fma_f64 v[17:18], v[1:2], v[111:112], v[3:4]
	v_mul_f64 v[1:2], v[57:58], v[29:30]
	v_mul_f64 v[3:4], v[67:68], v[35:36]
	v_add_f64 v[59:60], v[81:82], v[79:80]
	s_waitcnt lgkmcnt(0)
	v_add_f64 v[96:97], v[105:106], v[81:82]
	v_add_f64 v[111:112], v[89:90], v[9:10]
	;; [unrolled: 1-line block ×3, first 2 shown]
	v_fma_f64 v[51:52], v[27:28], v[99:100], -v[1:2]
	v_mul_f64 v[1:2], v[99:100], v[29:30]
	v_fma_f64 v[29:30], v[33:34], v[115:116], v[3:4]
	v_mul_f64 v[3:4], v[101:102], v[39:40]
	v_add_f64 v[98:99], v[103:104], v[87:88]
	v_fma_f64 v[59:60], v[59:60], -0.5, v[105:106]
	v_fma_f64 v[111:112], v[111:112], -0.5, v[109:110]
	;; [unrolled: 1-line block ×3, first 2 shown]
	v_add_f64 v[96:97], v[96:97], v[75:76]
	v_fma_f64 v[27:28], v[27:28], v[57:58], v[1:2]
	v_mul_f64 v[1:2], v[115:116], v[35:36]
	v_mul_f64 v[35:36], v[71:72], v[43:44]
	v_add_f64 v[98:99], v[98:99], v[83:84]
	s_delay_alu instid0(VALU_DEP_3)
	v_fma_f64 v[57:58], v[33:34], v[67:68], -v[1:2]
	v_mul_f64 v[1:2], v[65:66], v[39:40]
	v_mul_f64 v[33:34], v[69:70], v[43:44]
	v_fma_f64 v[35:36], v[41:42], v[69:70], v[35:36]
	v_add_f64 v[67:68], v[31:32], -v[61:62]
	v_add_f64 v[39:40], v[75:76], v[23:24]
	v_fma_f64 v[43:44], v[37:38], v[101:102], -v[1:2]
	v_mul_f64 v[1:2], v[119:120], v[47:48]
	v_fma_f64 v[37:38], v[37:38], v[65:66], v[3:4]
	v_mul_f64 v[3:4], v[117:118], v[47:48]
	v_add_f64 v[65:66], v[91:92], -v[93:94]
	v_fma_f64 v[33:34], v[41:42], v[71:72], -v[33:34]
	v_add_f64 v[71:72], v[75:76], -v[81:82]
	v_add_f64 v[100:101], v[23:24], -v[79:80]
	v_add_f64 v[47:48], v[83:84], v[85:86]
	v_add_f64 v[41:42], v[87:88], v[77:78]
	v_fma_f64 v[39:40], v[39:40], -0.5, v[105:106]
	v_fma_f64 v[69:70], v[45:46], v[117:118], -v[1:2]
	v_add_f64 v[1:2], v[89:90], -v[25:26]
	v_fma_f64 v[45:46], v[45:46], v[119:120], v[3:4]
	v_add_f64 v[3:4], v[9:10], -v[63:64]
	v_add_f64 v[65:66], v[65:66], v[67:68]
	v_add_f64 v[67:68], v[93:94], -v[91:92]
	v_add_f64 v[71:72], v[71:72], v[100:101]
	v_add_f64 v[100:101], v[25:26], -v[89:90]
	v_fma_f64 v[47:48], v[47:48], -0.5, v[103:104]
	v_fma_f64 v[41:42], v[41:42], -0.5, v[103:104]
	v_add_f64 v[102:103], v[85:86], -v[77:78]
	v_add_f64 v[104:105], v[77:78], -v[85:86]
	v_add_f64 v[1:2], v[1:2], v[3:4]
	v_add_f64 v[3:4], v[61:62], -v[31:32]
	s_delay_alu instid0(VALU_DEP_1) | instskip(SKIP_1) | instid1(VALU_DEP_1)
	v_add_f64 v[3:4], v[67:68], v[3:4]
	v_add_f64 v[67:68], v[63:64], -v[9:10]
	v_add_f64 v[67:68], v[100:101], v[67:68]
	v_add_f64 v[100:101], v[83:84], -v[87:88]
	s_delay_alu instid0(VALU_DEP_1) | instskip(SKIP_4) | instid1(VALU_DEP_4)
	v_add_f64 v[100:101], v[100:101], v[102:103]
	v_add_f64 v[102:103], v[87:88], -v[83:84]
	v_add_f64 v[83:84], v[83:84], -v[85:86]
	v_add_f64 v[85:86], v[98:99], v[85:86]
	v_add_f64 v[87:88], v[87:88], -v[77:78]
	v_add_f64 v[102:103], v[102:103], v[104:105]
	v_add_f64 v[104:105], v[25:26], v[63:64]
	v_fma_f64 v[98:99], v[83:84], s[6:7], v[59:60]
	v_fma_f64 v[59:60], v[83:84], s[10:11], v[59:60]
	s_delay_alu instid0(VALU_DEP_3) | instskip(SKIP_1) | instid1(VALU_DEP_4)
	v_fma_f64 v[104:105], v[104:105], -0.5, v[109:110]
	v_add_f64 v[109:110], v[109:110], v[89:90]
	v_fma_f64 v[98:99], v[87:88], s[14:15], v[98:99]
	s_delay_alu instid0(VALU_DEP_4) | instskip(SKIP_1) | instid1(VALU_DEP_4)
	v_fma_f64 v[59:60], v[87:88], s[12:13], v[59:60]
	v_add_f64 v[89:90], v[89:90], -v[9:10]
	v_add_f64 v[109:110], v[109:110], v[25:26]
	v_add_f64 v[25:26], v[25:26], -v[63:64]
	s_delay_alu instid0(VALU_DEP_4) | instskip(NEXT) | instid1(VALU_DEP_3)
	v_fma_f64 v[59:60], v[71:72], s[16:17], v[59:60]
	v_add_f64 v[63:64], v[109:110], v[63:64]
	v_add_f64 v[109:110], v[93:94], v[61:62]
	s_delay_alu instid0(VALU_DEP_2) | instskip(NEXT) | instid1(VALU_DEP_2)
	v_add_f64 v[9:10], v[63:64], v[9:10]
	v_fma_f64 v[109:110], v[109:110], -0.5, v[107:108]
	v_add_f64 v[106:107], v[107:108], v[91:92]
	s_delay_alu instid0(VALU_DEP_2) | instskip(NEXT) | instid1(VALU_DEP_2)
	v_fma_f64 v[117:118], v[89:90], s[6:7], v[109:110]
	v_add_f64 v[106:107], v[106:107], v[93:94]
	v_add_f64 v[93:94], v[93:94], -v[61:62]
	v_fma_f64 v[108:109], v[89:90], s[10:11], v[109:110]
	s_delay_alu instid0(VALU_DEP_3)
	v_add_f64 v[61:62], v[106:107], v[61:62]
	v_fma_f64 v[106:107], v[87:88], s[10:11], v[39:40]
	v_fma_f64 v[39:40], v[87:88], s[6:7], v[39:40]
	v_add_f64 v[87:88], v[91:92], -v[31:32]
	v_fma_f64 v[91:92], v[93:94], s[6:7], v[111:112]
	v_fma_f64 v[111:112], v[93:94], s[10:11], v[111:112]
	v_add_f64 v[31:32], v[61:62], v[31:32]
	v_fma_f64 v[39:40], v[83:84], s[12:13], v[39:40]
	v_fma_f64 v[115:116], v[87:88], s[10:11], v[104:105]
	;; [unrolled: 1-line block ×8, first 2 shown]
	s_delay_alu instid0(VALU_DEP_3) | instskip(NEXT) | instid1(VALU_DEP_3)
	v_fma_f64 v[110:111], v[89:90], s[12:13], v[111:112]
	v_fma_f64 v[89:90], v[89:90], s[14:15], v[113:114]
	;; [unrolled: 1-line block ×6, first 2 shown]
	v_add_f64 v[108:109], v[75:76], -v[23:24]
	v_add_f64 v[74:75], v[81:82], -v[75:76]
	;; [unrolled: 1-line block ×3, first 2 shown]
	v_add_f64 v[76:77], v[85:86], v[77:78]
	v_mul_lo_u16 v78, 0x64, v0
	s_delay_alu instid0(VALU_DEP_1)
	v_and_b32_e32 v78, 0xffff, v78
	v_fma_f64 v[25:26], v[65:66], s[16:17], v[25:26]
	v_fma_f64 v[114:115], v[108:109], s[10:11], v[41:42]
	;; [unrolled: 1-line block ×5, first 2 shown]
	v_mul_f64 v[85:86], v[25:26], s[12:13]
	v_fma_f64 v[114:115], v[81:82], s[12:13], v[114:115]
	v_fma_f64 v[41:42], v[81:82], s[14:15], v[41:42]
	;; [unrolled: 1-line block ×9, first 2 shown]
	v_add_f64 v[91:92], v[96:97], v[23:24]
	v_add_f64 v[23:24], v[79:80], -v[23:24]
	v_fma_f64 v[87:88], v[1:2], s[16:17], v[93:94]
	v_fma_f64 v[1:2], v[1:2], s[16:17], v[112:113]
	;; [unrolled: 1-line block ×7, first 2 shown]
	v_mul_f64 v[93:94], v[108:109], s[16:17]
	v_mul_f64 v[102:103], v[123:124], v[7:8]
	;; [unrolled: 1-line block ×5, first 2 shown]
	v_add_f64 v[79:80], v[91:92], v[79:80]
	v_add_f64 v[23:24], v[74:75], v[23:24]
	v_mul_f64 v[74:75], v[89:90], s[18:19]
	v_mul_f64 v[61:62], v[87:88], s[14:15]
	;; [unrolled: 1-line block ×4, first 2 shown]
	v_fma_f64 v[85:86], v[87:88], s[18:19], v[85:86]
	s_waitcnt vmcnt(0)
	v_mul_f64 v[87:88], v[129:130], v[55:56]
	v_mul_f64 v[55:56], v[11:12], v[55:56]
	v_fma_f64 v[67:68], v[67:68], s[10:11], -v[93:94]
	v_fma_f64 v[71:72], v[108:109], s[6:7], -v[71:72]
	v_fma_f64 v[39:40], v[23:24], s[16:17], v[39:40]
	v_fma_f64 v[0:1], v[1:2], s[14:15], -v[74:75]
	v_fma_f64 v[2:3], v[3:4], s[16:17], v[63:64]
	v_add_nc_u32_e32 v4, s9, v73
	v_add_nc_u32_e32 v73, v95, v78
	v_mul_f64 v[74:75], v[125:126], v[21:22]
	v_fma_f64 v[25:26], v[25:26], s[18:19], v[61:62]
	v_add_f64 v[61:62], v[76:77], -v[31:32]
	v_add_f64 v[63:64], v[79:80], -v[9:10]
	v_add_nc_u32_e32 v78, 10, v73
	v_fma_f64 v[65:66], v[65:66], s[16:17], v[91:92]
	v_mad_u64_u32 v[91:92], null, s8, v73, v[4:5]
	v_fma_f64 v[23:24], v[23:24], s[16:17], v[83:84]
	v_fma_f64 v[83:84], v[89:90], s[12:13], -v[100:101]
	v_fma_f64 v[89:90], v[5:6], v[121:122], -v[102:103]
	v_mad_u64_u32 v[93:94], null, s8, v78, v[4:5]
	v_fma_f64 v[5:6], v[5:6], v[123:124], v[7:8]
	v_add_nc_u32_e32 v104, 30, v73
	v_add_nc_u32_e32 v106, 40, v73
	v_add_nc_u32_e32 v108, 50, v73
	v_mul_f64 v[21:22], v[127:128], v[21:22]
	v_add_f64 v[9:10], v[79:80], v[9:10]
	v_add_f64 v[31:32], v[76:77], v[31:32]
	v_add_nc_u32_e32 v95, 20, v73
	v_add_nc_u32_e32 v110, 60, v73
	v_add_nc_u32_e32 v111, 0x46, v73
	v_add_nc_u32_e32 v112, 0x50, v73
	v_add_nc_u32_e32 v113, 0x5a, v73
	v_fma_f64 v[11:12], v[53:54], v[11:12], v[87:88]
	v_mov_b32_e32 v92, 0
	s_delay_alu instid0(VALU_DEP_1)
	v_mov_b32_e32 v94, v92
	v_add_f64 v[79:80], v[39:40], v[85:86]
	v_add_f64 v[39:40], v[39:40], -v[85:86]
	v_add_f64 v[85:86], v[96:97], v[71:72]
	v_add_f64 v[87:88], v[81:82], -v[0:1]
	v_add_f64 v[81:82], v[81:82], v[0:1]
	v_fma_f64 v[73:74], v[19:20], v[127:128], v[74:75]
	v_add_f64 v[77:78], v[47:48], v[25:26]
	v_mul_f64 v[75:76], v[61:62], v[35:36]
	v_mul_f64 v[35:36], v[63:64], v[35:36]
	v_add_f64 v[47:48], v[47:48], -v[25:26]
	v_add_f64 v[102:103], v[59:60], -v[65:66]
	v_add_f64 v[59:60], v[59:60], v[65:66]
	v_add_f64 v[65:66], v[41:42], v[2:3]
	v_add_f64 v[41:42], v[41:42], -v[2:3]
	v_add_f64 v[25:26], v[96:97], -v[71:72]
	v_lshlrev_b64 v[93:94], 4, v[93:94]
	v_mad_u64_u32 v[100:101], null, s8, v104, v[4:5]
	v_add_f64 v[104:105], v[98:99], -v[67:68]
	v_add_f64 v[67:68], v[98:99], v[67:68]
	v_mad_u64_u32 v[98:99], null, s8, v106, v[4:5]
	v_mad_u64_u32 v[106:107], null, s8, v108, v[4:5]
	v_add_f64 v[108:109], v[23:24], v[83:84]
	v_add_f64 v[23:24], v[23:24], -v[83:84]
	v_fma_f64 v[19:20], v[19:20], v[125:126], -v[21:22]
	v_fma_f64 v[21:22], v[53:54], v[129:130], -v[55:56]
	v_mul_f64 v[53:54], v[31:32], v[15:16]
	v_mul_f64 v[15:16], v[9:10], v[15:16]
	v_mad_u64_u32 v[7:8], null, s8, v95, v[4:5]
	v_mad_u64_u32 v[71:72], null, s8, v110, v[4:5]
	;; [unrolled: 1-line block ×4, first 2 shown]
	v_mul_f64 v[116:117], v[85:86], v[5:6]
	v_mad_u64_u32 v[110:111], null, s8, v113, v[4:5]
	v_mov_b32_e32 v111, v92
	v_mul_f64 v[112:113], v[81:82], v[45:46]
	v_fma_f64 v[2:3], v[63:64], v[33:34], v[75:76]
	v_fma_f64 v[0:1], v[61:62], v[33:34], -v[35:36]
	v_mul_f64 v[33:34], v[11:12], v[77:78]
	v_mul_f64 v[35:36], v[11:12], v[79:80]
	v_mul_f64 v[61:62], v[59:60], v[73:74]
	v_mul_f64 v[55:56], v[65:66], v[73:74]
	v_mul_f64 v[118:119], v[47:48], v[37:38]
	v_mul_f64 v[120:121], v[39:40], v[37:38]
	v_mul_f64 v[63:64], v[87:88], v[17:18]
	v_mul_f64 v[75:76], v[41:42], v[29:30]
	v_mul_f64 v[122:123], v[102:103], v[29:30]
	v_mul_f64 v[124:125], v[25:26], v[27:28]
	v_mov_b32_e32 v8, v92
	v_mul_f64 v[73:74], v[104:105], v[27:28]
	v_mul_f64 v[114:115], v[67:68], v[5:6]
	v_mov_b32_e32 v101, v92
	v_mov_b32_e32 v99, v92
	;; [unrolled: 1-line block ×4, first 2 shown]
	v_mul_f64 v[45:46], v[108:109], v[45:46]
	v_mul_f64 v[126:127], v[23:24], v[17:18]
	v_mov_b32_e32 v84, v92
	v_mov_b32_e32 v96, v92
	v_lshlrev_b64 v[91:92], 4, v[91:92]
	v_lshlrev_b64 v[4:5], 4, v[7:8]
	v_fma_f64 v[6:7], v[9:10], v[13:14], v[53:54]
	v_lshlrev_b64 v[100:101], 4, v[100:101]
	v_lshlrev_b64 v[97:98], 4, v[98:99]
	;; [unrolled: 1-line block ×3, first 2 shown]
	v_add_co_u32 v91, vcc_lo, s4, v91
	v_add_co_ci_u32_e32 v92, vcc_lo, s5, v92, vcc_lo
	v_add_co_u32 v93, vcc_lo, s4, v93
	v_add_co_ci_u32_e32 v94, vcc_lo, s5, v94, vcc_lo
	;; [unrolled: 2-line block ×3, first 2 shown]
	v_fma_f64 v[4:5], v[31:32], v[13:14], -v[15:16]
	v_fma_f64 v[10:11], v[21:22], v[79:80], v[33:34]
	v_fma_f64 v[8:9], v[21:22], v[77:78], -v[35:36]
	v_fma_f64 v[14:15], v[59:60], v[19:20], v[55:56]
	v_fma_f64 v[12:13], v[65:66], v[19:20], -v[61:62]
	v_fma_f64 v[32:33], v[67:68], v[89:90], -v[116:117]
	v_fma_f64 v[30:31], v[108:109], v[69:70], v[112:113]
	v_fma_f64 v[38:39], v[39:40], v[43:44], v[118:119]
	v_fma_f64 v[36:37], v[47:48], v[43:44], -v[120:121]
	v_fma_f64 v[18:19], v[23:24], v[49:50], v[63:64]
	v_fma_f64 v[22:23], v[25:26], v[51:52], v[73:74]
	;; [unrolled: 1-line block ×4, first 2 shown]
	v_fma_f64 v[24:25], v[41:42], v[57:58], -v[122:123]
	v_fma_f64 v[20:21], v[104:105], v[51:52], -v[124:125]
	v_add_co_u32 v40, vcc_lo, s4, v100
	v_fma_f64 v[28:29], v[81:82], v[69:70], -v[45:46]
	v_fma_f64 v[16:17], v[87:88], v[49:50], -v[126:127]
	v_add_co_ci_u32_e32 v41, vcc_lo, s5, v101, vcc_lo
	v_lshlrev_b64 v[71:72], 4, v[71:72]
	v_add_co_u32 v42, vcc_lo, s4, v97
	v_add_co_ci_u32_e32 v43, vcc_lo, s5, v98, vcc_lo
	v_lshlrev_b64 v[83:84], 4, v[83:84]
	v_add_co_u32 v44, vcc_lo, s4, v106
	;; [unrolled: 3-line block ×4, first 2 shown]
	v_add_co_ci_u32_e32 v49, vcc_lo, s5, v84, vcc_lo
	v_add_co_u32 v50, vcc_lo, s4, v95
	v_add_co_ci_u32_e32 v51, vcc_lo, s5, v96, vcc_lo
	v_add_co_u32 v52, vcc_lo, s4, v110
	v_add_co_ci_u32_e32 v53, vcc_lo, s5, v111, vcc_lo
	s_clause 0x9
	global_store_b128 v[91:92], v[4:7], off
	global_store_b128 v[93:94], v[8:11], off
	;; [unrolled: 1-line block ×10, first 2 shown]
.LBB0_24:
	s_nop 0
	s_sendmsg sendmsg(MSG_DEALLOC_VGPRS)
	s_endpgm
	.section	.rodata,"a",@progbits
	.p2align	6, 0x0
	.amdhsa_kernel fft_rtc_fwd_len100_factors_10_10_wgs_190_tpt_10_dim2_dp_ip_CI_sbcc_twdbase8_3step_dirReg_intrinsicReadWrite
		.amdhsa_group_segment_fixed_size 0
		.amdhsa_private_segment_fixed_size 0
		.amdhsa_kernarg_size 88
		.amdhsa_user_sgpr_count 15
		.amdhsa_user_sgpr_dispatch_ptr 0
		.amdhsa_user_sgpr_queue_ptr 0
		.amdhsa_user_sgpr_kernarg_segment_ptr 1
		.amdhsa_user_sgpr_dispatch_id 0
		.amdhsa_user_sgpr_private_segment_size 0
		.amdhsa_wavefront_size32 1
		.amdhsa_uses_dynamic_stack 0
		.amdhsa_enable_private_segment 0
		.amdhsa_system_sgpr_workgroup_id_x 1
		.amdhsa_system_sgpr_workgroup_id_y 0
		.amdhsa_system_sgpr_workgroup_id_z 0
		.amdhsa_system_sgpr_workgroup_info 0
		.amdhsa_system_vgpr_workitem_id 0
		.amdhsa_next_free_vgpr 131
		.amdhsa_next_free_sgpr 20
		.amdhsa_reserve_vcc 1
		.amdhsa_float_round_mode_32 0
		.amdhsa_float_round_mode_16_64 0
		.amdhsa_float_denorm_mode_32 3
		.amdhsa_float_denorm_mode_16_64 3
		.amdhsa_dx10_clamp 1
		.amdhsa_ieee_mode 1
		.amdhsa_fp16_overflow 0
		.amdhsa_workgroup_processor_mode 1
		.amdhsa_memory_ordered 1
		.amdhsa_forward_progress 0
		.amdhsa_shared_vgpr_count 0
		.amdhsa_exception_fp_ieee_invalid_op 0
		.amdhsa_exception_fp_denorm_src 0
		.amdhsa_exception_fp_ieee_div_zero 0
		.amdhsa_exception_fp_ieee_overflow 0
		.amdhsa_exception_fp_ieee_underflow 0
		.amdhsa_exception_fp_ieee_inexact 0
		.amdhsa_exception_int_div_zero 0
	.end_amdhsa_kernel
	.text
.Lfunc_end0:
	.size	fft_rtc_fwd_len100_factors_10_10_wgs_190_tpt_10_dim2_dp_ip_CI_sbcc_twdbase8_3step_dirReg_intrinsicReadWrite, .Lfunc_end0-fft_rtc_fwd_len100_factors_10_10_wgs_190_tpt_10_dim2_dp_ip_CI_sbcc_twdbase8_3step_dirReg_intrinsicReadWrite
                                        ; -- End function
	.section	.AMDGPU.csdata,"",@progbits
; Kernel info:
; codeLenInByte = 7336
; NumSgprs: 22
; NumVgprs: 131
; ScratchSize: 0
; MemoryBound: 0
; FloatMode: 240
; IeeeMode: 1
; LDSByteSize: 0 bytes/workgroup (compile time only)
; SGPRBlocks: 2
; VGPRBlocks: 16
; NumSGPRsForWavesPerEU: 22
; NumVGPRsForWavesPerEU: 131
; Occupancy: 10
; WaveLimiterHint : 1
; COMPUTE_PGM_RSRC2:SCRATCH_EN: 0
; COMPUTE_PGM_RSRC2:USER_SGPR: 15
; COMPUTE_PGM_RSRC2:TRAP_HANDLER: 0
; COMPUTE_PGM_RSRC2:TGID_X_EN: 1
; COMPUTE_PGM_RSRC2:TGID_Y_EN: 0
; COMPUTE_PGM_RSRC2:TGID_Z_EN: 0
; COMPUTE_PGM_RSRC2:TIDIG_COMP_CNT: 0
	.text
	.p2alignl 7, 3214868480
	.fill 96, 4, 3214868480
	.type	__hip_cuid_e64383ed0028f2a8,@object ; @__hip_cuid_e64383ed0028f2a8
	.section	.bss,"aw",@nobits
	.globl	__hip_cuid_e64383ed0028f2a8
__hip_cuid_e64383ed0028f2a8:
	.byte	0                               ; 0x0
	.size	__hip_cuid_e64383ed0028f2a8, 1

	.ident	"AMD clang version 19.0.0git (https://github.com/RadeonOpenCompute/llvm-project roc-6.4.0 25133 c7fe45cf4b819c5991fe208aaa96edf142730f1d)"
	.section	".note.GNU-stack","",@progbits
	.addrsig
	.addrsig_sym __hip_cuid_e64383ed0028f2a8
	.amdgpu_metadata
---
amdhsa.kernels:
  - .args:
      - .actual_access:  read_only
        .address_space:  global
        .offset:         0
        .size:           8
        .value_kind:     global_buffer
      - .address_space:  global
        .offset:         8
        .size:           8
        .value_kind:     global_buffer
      - .actual_access:  read_only
        .address_space:  global
        .offset:         16
        .size:           8
        .value_kind:     global_buffer
      - .actual_access:  read_only
        .address_space:  global
        .offset:         24
        .size:           8
        .value_kind:     global_buffer
      - .offset:         32
        .size:           8
        .value_kind:     by_value
      - .actual_access:  read_only
        .address_space:  global
        .offset:         40
        .size:           8
        .value_kind:     global_buffer
      - .actual_access:  read_only
        .address_space:  global
        .offset:         48
        .size:           8
        .value_kind:     global_buffer
      - .offset:         56
        .size:           4
        .value_kind:     by_value
      - .actual_access:  read_only
        .address_space:  global
        .offset:         64
        .size:           8
        .value_kind:     global_buffer
      - .actual_access:  read_only
        .address_space:  global
        .offset:         72
        .size:           8
        .value_kind:     global_buffer
      - .address_space:  global
        .offset:         80
        .size:           8
        .value_kind:     global_buffer
    .group_segment_fixed_size: 0
    .kernarg_segment_align: 8
    .kernarg_segment_size: 88
    .language:       OpenCL C
    .language_version:
      - 2
      - 0
    .max_flat_workgroup_size: 190
    .name:           fft_rtc_fwd_len100_factors_10_10_wgs_190_tpt_10_dim2_dp_ip_CI_sbcc_twdbase8_3step_dirReg_intrinsicReadWrite
    .private_segment_fixed_size: 0
    .sgpr_count:     22
    .sgpr_spill_count: 0
    .symbol:         fft_rtc_fwd_len100_factors_10_10_wgs_190_tpt_10_dim2_dp_ip_CI_sbcc_twdbase8_3step_dirReg_intrinsicReadWrite.kd
    .uniform_work_group_size: 1
    .uses_dynamic_stack: false
    .vgpr_count:     131
    .vgpr_spill_count: 0
    .wavefront_size: 32
    .workgroup_processor_mode: 1
amdhsa.target:   amdgcn-amd-amdhsa--gfx1100
amdhsa.version:
  - 1
  - 2
...

	.end_amdgpu_metadata
